;; amdgpu-corpus repo=ROCm/rocFFT kind=compiled arch=gfx1030 opt=O3
	.text
	.amdgcn_target "amdgcn-amd-amdhsa--gfx1030"
	.amdhsa_code_object_version 6
	.protected	fft_rtc_back_len1715_factors_5_7_7_7_wgs_245_tpt_245_halfLds_dp_op_CI_CI_unitstride_sbrr_dirReg ; -- Begin function fft_rtc_back_len1715_factors_5_7_7_7_wgs_245_tpt_245_halfLds_dp_op_CI_CI_unitstride_sbrr_dirReg
	.globl	fft_rtc_back_len1715_factors_5_7_7_7_wgs_245_tpt_245_halfLds_dp_op_CI_CI_unitstride_sbrr_dirReg
	.p2align	8
	.type	fft_rtc_back_len1715_factors_5_7_7_7_wgs_245_tpt_245_halfLds_dp_op_CI_CI_unitstride_sbrr_dirReg,@function
fft_rtc_back_len1715_factors_5_7_7_7_wgs_245_tpt_245_halfLds_dp_op_CI_CI_unitstride_sbrr_dirReg: ; @fft_rtc_back_len1715_factors_5_7_7_7_wgs_245_tpt_245_halfLds_dp_op_CI_CI_unitstride_sbrr_dirReg
; %bb.0:
	s_clause 0x2
	s_load_dwordx4 s[12:15], s[4:5], 0x0
	s_load_dwordx4 s[8:11], s[4:5], 0x58
	;; [unrolled: 1-line block ×3, first 2 shown]
	v_mul_u32_u24_e32 v2, 0x10c, v0
	v_mov_b32_e32 v1, 0
	v_mov_b32_e32 v4, 0
	;; [unrolled: 1-line block ×3, first 2 shown]
	v_add_nc_u32_sdwa v6, s6, v2 dst_sel:DWORD dst_unused:UNUSED_PAD src0_sel:DWORD src1_sel:WORD_1
	v_mov_b32_e32 v7, v1
	s_waitcnt lgkmcnt(0)
	v_cmp_lt_u64_e64 s0, s[14:15], 2
	s_and_b32 vcc_lo, exec_lo, s0
	s_cbranch_vccnz .LBB0_8
; %bb.1:
	s_load_dwordx2 s[0:1], s[4:5], 0x10
	v_mov_b32_e32 v4, 0
	v_mov_b32_e32 v5, 0
	s_add_u32 s2, s18, 8
	s_addc_u32 s3, s19, 0
	s_add_u32 s6, s16, 8
	s_addc_u32 s7, s17, 0
	v_mov_b32_e32 v41, v5
	v_mov_b32_e32 v40, v4
	s_mov_b64 s[22:23], 1
	s_waitcnt lgkmcnt(0)
	s_add_u32 s20, s0, 8
	s_addc_u32 s21, s1, 0
.LBB0_2:                                ; =>This Inner Loop Header: Depth=1
	s_load_dwordx2 s[24:25], s[20:21], 0x0
                                        ; implicit-def: $vgpr42_vgpr43
	s_mov_b32 s0, exec_lo
	s_waitcnt lgkmcnt(0)
	v_or_b32_e32 v2, s25, v7
	v_cmpx_ne_u64_e32 0, v[1:2]
	s_xor_b32 s1, exec_lo, s0
	s_cbranch_execz .LBB0_4
; %bb.3:                                ;   in Loop: Header=BB0_2 Depth=1
	v_cvt_f32_u32_e32 v2, s24
	v_cvt_f32_u32_e32 v3, s25
	s_sub_u32 s0, 0, s24
	s_subb_u32 s26, 0, s25
	v_fmac_f32_e32 v2, 0x4f800000, v3
	v_rcp_f32_e32 v2, v2
	v_mul_f32_e32 v2, 0x5f7ffffc, v2
	v_mul_f32_e32 v3, 0x2f800000, v2
	v_trunc_f32_e32 v3, v3
	v_fmac_f32_e32 v2, 0xcf800000, v3
	v_cvt_u32_f32_e32 v3, v3
	v_cvt_u32_f32_e32 v2, v2
	v_mul_lo_u32 v8, s0, v3
	v_mul_hi_u32 v9, s0, v2
	v_mul_lo_u32 v10, s26, v2
	v_add_nc_u32_e32 v8, v9, v8
	v_mul_lo_u32 v9, s0, v2
	v_add_nc_u32_e32 v8, v8, v10
	v_mul_hi_u32 v10, v2, v9
	v_mul_lo_u32 v11, v2, v8
	v_mul_hi_u32 v12, v2, v8
	v_mul_hi_u32 v13, v3, v9
	v_mul_lo_u32 v9, v3, v9
	v_mul_hi_u32 v14, v3, v8
	v_mul_lo_u32 v8, v3, v8
	v_add_co_u32 v10, vcc_lo, v10, v11
	v_add_co_ci_u32_e32 v11, vcc_lo, 0, v12, vcc_lo
	v_add_co_u32 v9, vcc_lo, v10, v9
	v_add_co_ci_u32_e32 v9, vcc_lo, v11, v13, vcc_lo
	v_add_co_ci_u32_e32 v10, vcc_lo, 0, v14, vcc_lo
	v_add_co_u32 v8, vcc_lo, v9, v8
	v_add_co_ci_u32_e32 v9, vcc_lo, 0, v10, vcc_lo
	v_add_co_u32 v2, vcc_lo, v2, v8
	v_add_co_ci_u32_e32 v3, vcc_lo, v3, v9, vcc_lo
	v_mul_hi_u32 v8, s0, v2
	v_mul_lo_u32 v10, s26, v2
	v_mul_lo_u32 v9, s0, v3
	v_add_nc_u32_e32 v8, v8, v9
	v_mul_lo_u32 v9, s0, v2
	v_add_nc_u32_e32 v8, v8, v10
	v_mul_hi_u32 v10, v2, v9
	v_mul_lo_u32 v11, v2, v8
	v_mul_hi_u32 v12, v2, v8
	v_mul_hi_u32 v13, v3, v9
	v_mul_lo_u32 v9, v3, v9
	v_mul_hi_u32 v14, v3, v8
	v_mul_lo_u32 v8, v3, v8
	v_add_co_u32 v10, vcc_lo, v10, v11
	v_add_co_ci_u32_e32 v11, vcc_lo, 0, v12, vcc_lo
	v_add_co_u32 v9, vcc_lo, v10, v9
	v_add_co_ci_u32_e32 v9, vcc_lo, v11, v13, vcc_lo
	v_add_co_ci_u32_e32 v10, vcc_lo, 0, v14, vcc_lo
	v_add_co_u32 v8, vcc_lo, v9, v8
	v_add_co_ci_u32_e32 v9, vcc_lo, 0, v10, vcc_lo
	v_add_co_u32 v8, vcc_lo, v2, v8
	v_add_co_ci_u32_e32 v10, vcc_lo, v3, v9, vcc_lo
	v_mul_hi_u32 v12, v6, v8
	v_mad_u64_u32 v[8:9], null, v7, v8, 0
	v_mad_u64_u32 v[2:3], null, v6, v10, 0
	;; [unrolled: 1-line block ×3, first 2 shown]
	v_add_co_u32 v2, vcc_lo, v12, v2
	v_add_co_ci_u32_e32 v3, vcc_lo, 0, v3, vcc_lo
	v_add_co_u32 v2, vcc_lo, v2, v8
	v_add_co_ci_u32_e32 v2, vcc_lo, v3, v9, vcc_lo
	v_add_co_ci_u32_e32 v3, vcc_lo, 0, v11, vcc_lo
	v_add_co_u32 v8, vcc_lo, v2, v10
	v_add_co_ci_u32_e32 v9, vcc_lo, 0, v3, vcc_lo
	v_mul_lo_u32 v10, s25, v8
	v_mad_u64_u32 v[2:3], null, s24, v8, 0
	v_mul_lo_u32 v11, s24, v9
	v_sub_co_u32 v2, vcc_lo, v6, v2
	v_add3_u32 v3, v3, v11, v10
	v_sub_nc_u32_e32 v10, v7, v3
	v_subrev_co_ci_u32_e64 v10, s0, s25, v10, vcc_lo
	v_add_co_u32 v11, s0, v8, 2
	v_add_co_ci_u32_e64 v12, s0, 0, v9, s0
	v_sub_co_u32 v13, s0, v2, s24
	v_sub_co_ci_u32_e32 v3, vcc_lo, v7, v3, vcc_lo
	v_subrev_co_ci_u32_e64 v10, s0, 0, v10, s0
	v_cmp_le_u32_e32 vcc_lo, s24, v13
	v_cmp_eq_u32_e64 s0, s25, v3
	v_cndmask_b32_e64 v13, 0, -1, vcc_lo
	v_cmp_le_u32_e32 vcc_lo, s25, v10
	v_cndmask_b32_e64 v14, 0, -1, vcc_lo
	v_cmp_le_u32_e32 vcc_lo, s24, v2
	;; [unrolled: 2-line block ×3, first 2 shown]
	v_cndmask_b32_e64 v15, 0, -1, vcc_lo
	v_cmp_eq_u32_e32 vcc_lo, s25, v10
	v_cndmask_b32_e64 v2, v15, v2, s0
	v_cndmask_b32_e32 v10, v14, v13, vcc_lo
	v_add_co_u32 v13, vcc_lo, v8, 1
	v_add_co_ci_u32_e32 v14, vcc_lo, 0, v9, vcc_lo
	v_cmp_ne_u32_e32 vcc_lo, 0, v10
	v_cndmask_b32_e32 v3, v14, v12, vcc_lo
	v_cndmask_b32_e32 v10, v13, v11, vcc_lo
	v_cmp_ne_u32_e32 vcc_lo, 0, v2
	v_cndmask_b32_e32 v43, v9, v3, vcc_lo
	v_cndmask_b32_e32 v42, v8, v10, vcc_lo
.LBB0_4:                                ;   in Loop: Header=BB0_2 Depth=1
	s_andn2_saveexec_b32 s0, s1
	s_cbranch_execz .LBB0_6
; %bb.5:                                ;   in Loop: Header=BB0_2 Depth=1
	v_cvt_f32_u32_e32 v2, s24
	s_sub_i32 s1, 0, s24
	v_mov_b32_e32 v43, v1
	v_rcp_iflag_f32_e32 v2, v2
	v_mul_f32_e32 v2, 0x4f7ffffe, v2
	v_cvt_u32_f32_e32 v2, v2
	v_mul_lo_u32 v3, s1, v2
	v_mul_hi_u32 v3, v2, v3
	v_add_nc_u32_e32 v2, v2, v3
	v_mul_hi_u32 v2, v6, v2
	v_mul_lo_u32 v3, v2, s24
	v_add_nc_u32_e32 v8, 1, v2
	v_sub_nc_u32_e32 v3, v6, v3
	v_subrev_nc_u32_e32 v9, s24, v3
	v_cmp_le_u32_e32 vcc_lo, s24, v3
	v_cndmask_b32_e32 v3, v3, v9, vcc_lo
	v_cndmask_b32_e32 v2, v2, v8, vcc_lo
	v_cmp_le_u32_e32 vcc_lo, s24, v3
	v_add_nc_u32_e32 v8, 1, v2
	v_cndmask_b32_e32 v42, v2, v8, vcc_lo
.LBB0_6:                                ;   in Loop: Header=BB0_2 Depth=1
	s_or_b32 exec_lo, exec_lo, s0
	v_mul_lo_u32 v8, v43, s24
	v_mul_lo_u32 v9, v42, s25
	s_load_dwordx2 s[0:1], s[6:7], 0x0
	v_mad_u64_u32 v[2:3], null, v42, s24, 0
	s_load_dwordx2 s[24:25], s[2:3], 0x0
	s_add_u32 s22, s22, 1
	s_addc_u32 s23, s23, 0
	s_add_u32 s2, s2, 8
	s_addc_u32 s3, s3, 0
	s_add_u32 s6, s6, 8
	v_add3_u32 v3, v3, v9, v8
	v_sub_co_u32 v2, vcc_lo, v6, v2
	s_addc_u32 s7, s7, 0
	s_add_u32 s20, s20, 8
	v_sub_co_ci_u32_e32 v3, vcc_lo, v7, v3, vcc_lo
	s_addc_u32 s21, s21, 0
	s_waitcnt lgkmcnt(0)
	v_mul_lo_u32 v6, s0, v3
	v_mul_lo_u32 v7, s1, v2
	v_mad_u64_u32 v[4:5], null, s0, v2, v[4:5]
	v_mul_lo_u32 v3, s24, v3
	v_mul_lo_u32 v8, s25, v2
	v_mad_u64_u32 v[40:41], null, s24, v2, v[40:41]
	v_cmp_ge_u64_e64 s0, s[22:23], s[14:15]
	v_add3_u32 v5, v7, v5, v6
	v_add3_u32 v41, v8, v41, v3
	s_and_b32 vcc_lo, exec_lo, s0
	s_cbranch_vccnz .LBB0_9
; %bb.7:                                ;   in Loop: Header=BB0_2 Depth=1
	v_mov_b32_e32 v6, v42
	v_mov_b32_e32 v7, v43
	s_branch .LBB0_2
.LBB0_8:
	v_mov_b32_e32 v41, v5
	v_mov_b32_e32 v43, v7
	;; [unrolled: 1-line block ×4, first 2 shown]
.LBB0_9:
	s_load_dwordx2 s[0:1], s[4:5], 0x28
	v_mul_hi_u32 v1, 0x10b7e6f, v0
	s_lshl_b64 s[4:5], s[14:15], 3
                                        ; implicit-def: $sgpr6
                                        ; implicit-def: $vgpr45
	s_add_u32 s2, s18, s4
	s_addc_u32 s3, s19, s5
	s_waitcnt lgkmcnt(0)
	v_cmp_gt_u64_e32 vcc_lo, s[0:1], v[42:43]
	v_cmp_le_u64_e64 s0, s[0:1], v[42:43]
	s_and_saveexec_b32 s1, s0
	s_xor_b32 s0, exec_lo, s1
; %bb.10:
	v_mul_u32_u24_e32 v1, 0xf5, v1
	s_mov_b32 s6, 0
                                        ; implicit-def: $vgpr4_vgpr5
	v_sub_nc_u32_e32 v45, v0, v1
                                        ; implicit-def: $vgpr1
                                        ; implicit-def: $vgpr0
; %bb.11:
	s_or_saveexec_b32 s1, s0
	s_load_dwordx2 s[2:3], s[2:3], 0x0
	v_mov_b32_e32 v44, s6
                                        ; implicit-def: $vgpr2_vgpr3
                                        ; implicit-def: $vgpr6_vgpr7
                                        ; implicit-def: $vgpr10_vgpr11
                                        ; implicit-def: $vgpr14_vgpr15
                                        ; implicit-def: $vgpr18_vgpr19
                                        ; implicit-def: $vgpr22_vgpr23
                                        ; implicit-def: $vgpr26_vgpr27
                                        ; implicit-def: $vgpr30_vgpr31
                                        ; implicit-def: $vgpr34_vgpr35
                                        ; implicit-def: $vgpr38_vgpr39
	s_xor_b32 exec_lo, exec_lo, s1
	s_cbranch_execz .LBB0_15
; %bb.12:
	s_add_u32 s4, s16, s4
	s_addc_u32 s5, s17, s5
                                        ; implicit-def: $vgpr16_vgpr17
                                        ; implicit-def: $vgpr12_vgpr13
	s_load_dwordx2 s[4:5], s[4:5], 0x0
	s_waitcnt lgkmcnt(0)
	v_mul_lo_u32 v6, s5, v42
	v_mul_lo_u32 v7, s4, v43
	v_mad_u64_u32 v[2:3], null, s4, v42, 0
	s_mov_b32 s4, exec_lo
	v_add3_u32 v3, v3, v7, v6
	v_mul_u32_u24_e32 v6, 0xf5, v1
	v_lshlrev_b64 v[1:2], 4, v[2:3]
	v_lshlrev_b64 v[3:4], 4, v[4:5]
	v_sub_nc_u32_e32 v45, v0, v6
	v_add_co_u32 v0, s0, s8, v1
	v_add_co_ci_u32_e64 v1, s0, s9, v2, s0
	v_lshlrev_b32_e32 v2, 4, v45
	v_add_co_u32 v0, s0, v0, v3
	v_add_co_ci_u32_e64 v1, s0, v1, v4, s0
	v_add_co_u32 v2, s0, v0, v2
	v_add_co_ci_u32_e64 v3, s0, 0, v1, s0
	;; [unrolled: 2-line block ×6, first 2 shown]
	s_clause 0x4
	global_load_dwordx4 v[36:39], v[2:3], off
	global_load_dwordx4 v[32:35], v[0:1], off offset:1392
	global_load_dwordx4 v[28:31], v[4:5], off offset:736
	global_load_dwordx4 v[24:27], v[6:7], off offset:80
	global_load_dwordx4 v[20:23], v[8:9], off offset:1472
                                        ; implicit-def: $vgpr8_vgpr9
                                        ; implicit-def: $vgpr4_vgpr5
                                        ; implicit-def: $vgpr0_vgpr1
	v_cmpx_gt_u32_e32 0x62, v45
; %bb.13:
	v_add_co_u32 v0, s0, 0x800, v2
	v_add_co_ci_u32_e64 v1, s0, 0, v3, s0
	v_add_co_u32 v4, s0, 0x2000, v2
	v_add_co_ci_u32_e64 v5, s0, 0, v3, s0
	;; [unrolled: 2-line block ×5, first 2 shown]
	s_clause 0x4
	global_load_dwordx4 v[16:19], v[0:1], off offset:1872
	global_load_dwordx4 v[12:15], v[4:5], off offset:1216
	;; [unrolled: 1-line block ×5, first 2 shown]
; %bb.14:
	s_or_b32 exec_lo, exec_lo, s4
	v_mov_b32_e32 v44, v45
.LBB0_15:
	s_or_b32 exec_lo, exec_lo, s1
	s_waitcnt vmcnt(1)
	v_add_f64 v[46:47], v[24:25], v[28:29]
	s_waitcnt vmcnt(0)
	v_add_f64 v[48:49], v[20:21], v[32:33]
	v_add_f64 v[50:51], v[32:33], v[36:37]
	v_add_f64 v[52:53], v[34:35], -v[22:23]
	v_add_f64 v[54:55], v[30:31], -v[26:27]
	s_mov_b32 s4, 0x134454ff
	s_mov_b32 s5, 0xbfee6f0e
	;; [unrolled: 1-line block ×4, first 2 shown]
	v_add_f64 v[56:57], v[20:21], -v[24:25]
	v_add_f64 v[58:59], v[28:29], -v[32:33]
	;; [unrolled: 1-line block ×3, first 2 shown]
	s_mov_b32 s14, 0x4755a5e
	s_mov_b32 s15, 0xbfe2cf23
	;; [unrolled: 1-line block ×6, first 2 shown]
	v_cmp_gt_u32_e64 s0, 0x62, v45
	v_fma_f64 v[46:47], v[46:47], -0.5, v[36:37]
	v_fma_f64 v[36:37], v[48:49], -0.5, v[36:37]
	v_add_f64 v[48:49], v[32:33], -v[28:29]
	v_add_f64 v[50:51], v[28:29], v[50:51]
	v_fma_f64 v[62:63], v[52:53], s[4:5], v[46:47]
	v_fma_f64 v[64:65], v[54:55], s[8:9], v[36:37]
	;; [unrolled: 1-line block ×4, first 2 shown]
	v_add_f64 v[48:49], v[56:57], v[48:49]
	v_add_f64 v[56:57], v[60:61], v[58:59]
	v_add_f64 v[50:51], v[24:25], v[50:51]
	v_fma_f64 v[58:59], v[54:55], s[14:15], v[62:63]
	v_fma_f64 v[60:61], v[52:53], s[14:15], v[64:65]
	;; [unrolled: 1-line block ×4, first 2 shown]
	v_add_f64 v[50:51], v[20:21], v[50:51]
	v_fma_f64 v[52:53], v[48:49], s[6:7], v[58:59]
	v_fma_f64 v[54:55], v[56:57], s[6:7], v[60:61]
	v_fma_f64 v[56:57], v[56:57], s[6:7], v[36:37]
	v_fma_f64 v[47:48], v[48:49], s[6:7], v[46:47]
	v_mad_u32_u24 v36, v45, 40, 0
	ds_write2_b64 v36, v[50:51], v[52:53] offset1:1
	ds_write2_b64 v36, v[54:55], v[56:57] offset0:2 offset1:3
	ds_write_b64 v36, v[47:48] offset:32
	v_add_nc_u32_e32 v46, 0x2648, v36
	v_add_nc_u32_e32 v37, 0x2658, v36
	s_and_saveexec_b32 s1, s0
	s_cbranch_execz .LBB0_17
; %bb.16:
	v_add_f64 v[47:48], v[0:1], v[12:13]
	v_add_f64 v[49:50], v[4:5], v[8:9]
	v_add_f64 v[51:52], v[14:15], -v[2:3]
	v_add_f64 v[55:56], v[12:13], v[16:17]
	v_add_f64 v[53:54], v[10:11], -v[6:7]
	v_add_f64 v[57:58], v[4:5], -v[0:1]
	;; [unrolled: 1-line block ×4, first 2 shown]
	v_fma_f64 v[47:48], v[47:48], -0.5, v[16:17]
	v_fma_f64 v[16:17], v[49:50], -0.5, v[16:17]
	v_add_f64 v[49:50], v[8:9], -v[12:13]
	v_add_f64 v[55:56], v[8:9], v[55:56]
	v_fma_f64 v[63:64], v[53:54], s[4:5], v[47:48]
	v_fma_f64 v[65:66], v[51:52], s[4:5], v[16:17]
	;; [unrolled: 1-line block ×4, first 2 shown]
	v_add_f64 v[49:50], v[57:58], v[49:50]
	v_add_f64 v[57:58], v[61:62], v[59:60]
	;; [unrolled: 1-line block ×3, first 2 shown]
	v_fma_f64 v[59:60], v[51:52], s[16:17], v[63:64]
	v_fma_f64 v[61:62], v[53:54], s[14:15], v[65:66]
	;; [unrolled: 1-line block ×4, first 2 shown]
	v_add_f64 v[51:52], v[0:1], v[55:56]
	v_fma_f64 v[53:54], v[49:50], s[6:7], v[59:60]
	v_fma_f64 v[55:56], v[57:58], s[6:7], v[61:62]
	;; [unrolled: 1-line block ×4, first 2 shown]
	ds_write2_b64 v46, v[51:52], v[55:56] offset1:1
	ds_write2_b64 v37, v[47:48], v[53:54] offset1:1
	ds_write_b64 v36, v[16:17] offset:9832
.LBB0_17:
	s_or_b32 exec_lo, exec_lo, s1
	v_add_f64 v[16:17], v[26:27], v[30:31]
	v_add_f64 v[47:48], v[22:23], v[34:35]
	;; [unrolled: 1-line block ×3, first 2 shown]
	v_add_f64 v[20:21], v[32:33], -v[20:21]
	v_add_f64 v[24:25], v[28:29], -v[24:25]
	;; [unrolled: 1-line block ×4, first 2 shown]
	v_lshlrev_b32_e32 v53, 5, v45
	s_waitcnt lgkmcnt(0)
	s_barrier
	buffer_gl0_inv
	v_fma_f64 v[16:17], v[16:17], -0.5, v[38:39]
	v_fma_f64 v[28:29], v[47:48], -0.5, v[38:39]
	v_add_f64 v[38:39], v[22:23], -v[26:27]
	v_add_f64 v[30:31], v[30:31], v[49:50]
	v_add_f64 v[47:48], v[26:27], -v[22:23]
	v_fma_f64 v[49:50], v[20:21], s[8:9], v[16:17]
	v_fma_f64 v[51:52], v[24:25], s[4:5], v[28:29]
	;; [unrolled: 1-line block ×4, first 2 shown]
	v_add_f64 v[32:33], v[38:39], v[32:33]
	v_add_f64 v[30:31], v[26:27], v[30:31]
	;; [unrolled: 1-line block ×3, first 2 shown]
	v_fma_f64 v[38:39], v[24:25], s[16:17], v[49:50]
	v_fma_f64 v[47:48], v[20:21], s[16:17], v[51:52]
	;; [unrolled: 1-line block ×4, first 2 shown]
	v_sub_nc_u32_e32 v28, v36, v53
	v_add_f64 v[49:50], v[22:23], v[30:31]
	v_add_nc_u32_e32 v29, 0xf00, v28
	v_add_nc_u32_e32 v54, 0x1e80, v28
	ds_read2_b64 v[24:27], v28 offset1:245
	v_fma_f64 v[38:39], v[32:33], s[6:7], v[38:39]
	v_fma_f64 v[47:48], v[34:35], s[6:7], v[47:48]
	;; [unrolled: 1-line block ×4, first 2 shown]
	ds_read_b64 v[16:17], v28 offset:11760
	ds_read2_b64 v[28:31], v29 offset0:10 offset1:255
	ds_read2_b64 v[20:23], v54 offset0:4 offset1:249
	v_sub_nc_u32_e32 v32, 0, v53
	s_waitcnt lgkmcnt(0)
	s_barrier
	buffer_gl0_inv
	ds_write2_b64 v36, v[49:50], v[38:39] offset1:1
	ds_write2_b64 v36, v[47:48], v[34:35] offset0:2 offset1:3
	ds_write_b64 v36, v[51:52] offset:32
	s_and_saveexec_b32 s1, s0
	s_cbranch_execz .LBB0_19
; %bb.18:
	v_add_f64 v[33:34], v[6:7], v[10:11]
	v_add_f64 v[38:39], v[2:3], v[14:15]
	;; [unrolled: 1-line block ×3, first 2 shown]
	v_add_f64 v[0:1], v[12:13], -v[0:1]
	v_add_f64 v[4:5], v[8:9], -v[4:5]
	s_mov_b32 s4, 0x134454ff
	s_mov_b32 s5, 0x3fee6f0e
	s_mov_b32 s7, 0xbfee6f0e
	s_mov_b32 s6, s4
	v_fma_f64 v[8:9], v[33:34], -0.5, v[18:19]
	v_fma_f64 v[12:13], v[38:39], -0.5, v[18:19]
	v_add_f64 v[18:19], v[14:15], -v[10:11]
	v_add_f64 v[33:34], v[2:3], -v[6:7]
	;; [unrolled: 1-line block ×3, first 2 shown]
	v_add_f64 v[10:11], v[10:11], v[47:48]
	v_add_f64 v[38:39], v[6:7], -v[2:3]
	v_fma_f64 v[47:48], v[0:1], s[4:5], v[8:9]
	v_fma_f64 v[49:50], v[4:5], s[6:7], v[12:13]
	;; [unrolled: 1-line block ×4, first 2 shown]
	s_mov_b32 s4, 0x4755a5e
	s_mov_b32 s5, 0x3fe2cf23
	;; [unrolled: 1-line block ×4, first 2 shown]
	v_add_f64 v[18:19], v[33:34], v[18:19]
	v_add_f64 v[6:7], v[6:7], v[10:11]
	;; [unrolled: 1-line block ×3, first 2 shown]
	v_fma_f64 v[10:11], v[4:5], s[4:5], v[47:48]
	v_fma_f64 v[33:34], v[0:1], s[4:5], v[49:50]
	;; [unrolled: 1-line block ×4, first 2 shown]
	s_mov_b32 s4, 0x372fe950
	s_mov_b32 s5, 0x3fd3c6ef
	v_add_f64 v[2:3], v[2:3], v[6:7]
	v_fma_f64 v[6:7], v[18:19], s[4:5], v[10:11]
	v_fma_f64 v[8:9], v[14:15], s[4:5], v[33:34]
	;; [unrolled: 1-line block ×4, first 2 shown]
	ds_write2_b64 v46, v[2:3], v[6:7] offset1:1
	ds_write2_b64 v37, v[8:9], v[0:1] offset1:1
	ds_write_b64 v36, v[4:5] offset:9832
.LBB0_19:
	s_or_b32 exec_lo, exec_lo, s1
	v_and_b32_e32 v7, 0xff, v45
	v_mov_b32_e32 v74, 6
	s_waitcnt lgkmcnt(0)
	s_barrier
	buffer_gl0_inv
	v_mul_lo_u16 v0, 0xcd, v7
	v_add_nc_u32_e32 v14, v36, v32
	s_mov_b32 s14, 0x37e14327
	s_mov_b32 s6, 0x36b3c0b5
	;; [unrolled: 1-line block ×3, first 2 shown]
	v_lshrrev_b16 v13, 10, v0
	v_add_nc_u32_e32 v8, 0x1e80, v14
	s_mov_b32 s0, 0x429ad128
	s_mov_b32 s15, 0x3fe948f6
	;; [unrolled: 1-line block ×3, first 2 shown]
	v_mul_lo_u16 v0, v13, 5
	s_mov_b32 s21, 0x3fe11646
	s_mov_b32 s1, 0xbfebfeb5
	;; [unrolled: 1-line block ×4, first 2 shown]
	v_sub_nc_u16 v75, v45, v0
	s_mov_b32 s24, 0xb247c609
	s_mov_b32 s17, 0xbff2aaaa
	;; [unrolled: 1-line block ×4, first 2 shown]
	v_mul_u32_u24_sdwa v0, v75, v74 dst_sel:DWORD dst_unused:UNUSED_PAD src0_sel:BYTE_0 src1_sel:DWORD
	s_mov_b32 s25, 0xbfd5d0dc
	s_mov_b32 s19, 0x3fd5d0dc
	;; [unrolled: 1-line block ×4, first 2 shown]
	v_lshlrev_b32_e32 v4, 4, v0
	s_mov_b32 s22, 0x37c3f68c
	s_mov_b32 s23, 0xbfdc38aa
	v_mul_lo_u16 v7, 0xeb, v7
	v_mov_b32_e32 v76, 3
	s_clause 0x5
	global_load_dwordx4 v[0:3], v4, s[12:13]
	global_load_dwordx4 v[9:12], v4, s[12:13] offset:16
	global_load_dwordx4 v[46:49], v4, s[12:13] offset:80
	;; [unrolled: 1-line block ×5, first 2 shown]
	v_add_nc_u32_e32 v4, 0xf00, v14
	ds_read2_b64 v[32:35], v14 offset1:245
	ds_read2_b64 v[36:39], v4 offset0:10 offset1:255
	ds_read_b64 v[5:6], v14 offset:11760
	ds_read2_b64 v[62:65], v8 offset0:4 offset1:249
	v_lshrrev_b16 v7, 13, v7
	s_waitcnt vmcnt(0) lgkmcnt(0)
	s_barrier
	buffer_gl0_inv
	v_mul_f64 v[18:19], v[34:35], v[2:3]
	v_mul_f64 v[2:3], v[26:27], v[2:3]
	;; [unrolled: 1-line block ×8, first 2 shown]
	v_fma_f64 v[18:19], v[26:27], v[0:1], v[18:19]
	v_fma_f64 v[0:1], v[34:35], v[0:1], -v[2:3]
	v_mul_f64 v[2:3], v[16:17], v[48:49]
	v_mul_f64 v[26:27], v[22:23], v[52:53]
	v_fma_f64 v[28:29], v[28:29], v[9:10], v[66:67]
	v_fma_f64 v[9:10], v[36:37], v[9:10], -v[11:12]
	v_mul_f64 v[11:12], v[62:63], v[60:61]
	v_mul_f64 v[34:35], v[20:21], v[60:61]
	v_fma_f64 v[15:16], v[16:17], v[46:47], v[68:69]
	v_fma_f64 v[22:23], v[22:23], v[50:51], v[70:71]
	v_fma_f64 v[2:3], v[5:6], v[46:47], -v[2:3]
	v_fma_f64 v[5:6], v[64:65], v[50:51], -v[26:27]
	v_fma_f64 v[26:27], v[30:31], v[54:55], v[72:73]
	v_fma_f64 v[30:31], v[38:39], v[54:55], -v[56:57]
	v_fma_f64 v[11:12], v[20:21], v[58:59], v[11:12]
	v_fma_f64 v[20:21], v[62:63], v[58:59], -v[34:35]
	v_add_f64 v[34:35], v[18:19], v[15:16]
	v_add_f64 v[36:37], v[28:29], v[22:23]
	v_add_f64 v[22:23], v[28:29], -v[22:23]
	v_add_f64 v[15:16], v[18:19], -v[15:16]
	v_add_f64 v[38:39], v[0:1], v[2:3]
	v_add_f64 v[46:47], v[9:10], v[5:6]
	v_add_f64 v[5:6], v[9:10], -v[5:6]
	v_add_f64 v[0:1], v[0:1], -v[2:3]
	v_add_f64 v[9:10], v[26:27], v[11:12]
	v_add_f64 v[48:49], v[20:21], -v[30:31]
	v_add_f64 v[20:21], v[30:31], v[20:21]
	v_add_f64 v[2:3], v[36:37], v[34:35]
	v_add_f64 v[11:12], v[11:12], -v[26:27]
	v_add_f64 v[56:57], v[22:23], -v[15:16]
	v_add_f64 v[17:18], v[46:47], v[38:39]
	v_add_f64 v[30:31], v[5:6], -v[0:1]
	v_add_f64 v[26:27], v[34:35], -v[9:10]
	;; [unrolled: 1-line block ×4, first 2 shown]
	v_add_f64 v[2:3], v[9:10], v[2:3]
	v_add_f64 v[9:10], v[9:10], -v[36:37]
	v_add_f64 v[54:55], v[11:12], -v[22:23]
	;; [unrolled: 1-line block ×3, first 2 shown]
	v_add_f64 v[5:6], v[48:49], v[5:6]
	v_add_f64 v[34:35], v[36:37], -v[34:35]
	v_add_f64 v[38:39], v[46:47], -v[38:39]
	v_mul_f64 v[58:59], v[56:57], s[0:1]
	v_add_f64 v[17:18], v[20:21], v[17:18]
	v_add_f64 v[19:20], v[0:1], -v[48:49]
	v_mul_f64 v[48:49], v[30:31], s[0:1]
	v_mul_f64 v[26:27], v[26:27], s[14:15]
	;; [unrolled: 1-line block ×3, first 2 shown]
	v_add_f64 v[21:22], v[11:12], v[22:23]
	v_add_f64 v[24:25], v[24:25], v[2:3]
	v_mul_f64 v[36:37], v[9:10], s[6:7]
	v_add_f64 v[11:12], v[15:16], -v[11:12]
	v_mul_f64 v[46:47], v[50:51], s[14:15]
	v_mul_f64 v[54:55], v[54:55], s[20:21]
	;; [unrolled: 1-line block ×3, first 2 shown]
	v_add_f64 v[0:1], v[5:6], v[0:1]
	v_mov_b32_e32 v23, 0x118
	v_add_f64 v[32:33], v[32:33], v[17:18]
	v_fma_f64 v[5:6], v[9:10], s[6:7], v[26:27]
	v_fma_f64 v[9:10], v[19:20], s[24:25], v[28:29]
	v_fma_f64 v[28:29], v[30:31], s[0:1], -v[28:29]
	v_fma_f64 v[19:20], v[19:20], s[18:19], -v[48:49]
	v_fma_f64 v[2:3], v[2:3], s[16:17], v[24:25]
	v_fma_f64 v[26:27], v[34:35], s[8:9], -v[26:27]
	v_fma_f64 v[30:31], v[34:35], s[4:5], -v[36:37]
	v_add_f64 v[15:16], v[21:22], v[15:16]
	v_fma_f64 v[21:22], v[52:53], s[6:7], v[46:47]
	v_fma_f64 v[36:37], v[11:12], s[24:25], v[54:55]
	v_fma_f64 v[48:49], v[56:57], s[0:1], -v[54:55]
	v_fma_f64 v[11:12], v[11:12], s[18:19], -v[58:59]
	;; [unrolled: 1-line block ×4, first 2 shown]
	v_mul_lo_u16 v46, v7, 35
	v_fma_f64 v[17:18], v[17:18], s[16:17], v[32:33]
	v_fma_f64 v[9:10], v[0:1], s[22:23], v[9:10]
	;; [unrolled: 1-line block ×4, first 2 shown]
	v_add_f64 v[5:6], v[5:6], v[2:3]
	v_add_f64 v[19:20], v[26:27], v[2:3]
	;; [unrolled: 1-line block ×3, first 2 shown]
	v_fma_f64 v[26:27], v[15:16], s[22:23], v[36:37]
	v_fma_f64 v[30:31], v[15:16], s[22:23], v[48:49]
	;; [unrolled: 1-line block ×3, first 2 shown]
	v_add_f64 v[15:16], v[21:22], v[17:18]
	v_add_f64 v[21:22], v[38:39], v[17:18]
	;; [unrolled: 1-line block ×5, first 2 shown]
	v_add_f64 v[0:1], v[19:20], -v[0:1]
	v_add_f64 v[38:39], v[2:3], -v[28:29]
	v_add_f64 v[2:3], v[28:29], v[2:3]
	v_add_f64 v[5:6], v[5:6], -v[9:10]
	v_mul_u32_u24_sdwa v9, v13, v23 dst_sel:DWORD dst_unused:UNUSED_PAD src0_sel:WORD_0 src1_sel:DWORD
	v_sub_nc_u16 v13, v45, v46
	v_lshlrev_b32_sdwa v10, v76, v75 dst_sel:DWORD dst_unused:UNUSED_PAD src0_sel:DWORD src1_sel:BYTE_0
	v_mul_u32_u24_sdwa v23, v13, v74 dst_sel:DWORD dst_unused:UNUSED_PAD src0_sel:BYTE_0 src1_sel:DWORD
	v_add3_u32 v48, 0, v9, v10
	v_lshlrev_b32_sdwa v13, v76, v13 dst_sel:DWORD dst_unused:UNUSED_PAD src0_sel:DWORD src1_sel:BYTE_0
	v_add_f64 v[19:20], v[15:16], -v[26:27]
	v_add_f64 v[28:29], v[21:22], -v[11:12]
	v_add_f64 v[46:47], v[30:31], v[17:18]
	v_add_f64 v[30:31], v[17:18], -v[30:31]
	v_add_f64 v[21:22], v[11:12], v[21:22]
	v_add_f64 v[26:27], v[26:27], v[15:16]
	v_lshlrev_b32_e32 v49, 4, v23
	ds_write2_b64 v48, v[24:25], v[34:35] offset1:5
	ds_write2_b64 v48, v[36:37], v[38:39] offset0:10 offset1:15
	ds_write2_b64 v48, v[2:3], v[0:1] offset0:20 offset1:25
	ds_write_b64 v48, v[5:6] offset:240
	s_waitcnt lgkmcnt(0)
	s_barrier
	buffer_gl0_inv
	ds_read2_b64 v[0:3], v14 offset1:245
	ds_read2_b64 v[9:12], v4 offset0:10 offset1:255
	ds_read2_b64 v[15:18], v8 offset0:4 offset1:249
	ds_read_b64 v[5:6], v14 offset:11760
	s_waitcnt lgkmcnt(0)
	s_barrier
	buffer_gl0_inv
	ds_write2_b64 v48, v[32:33], v[19:20] offset1:5
	ds_write2_b64 v48, v[28:29], v[46:47] offset0:10 offset1:15
	ds_write2_b64 v48, v[30:31], v[21:22] offset0:20 offset1:25
	ds_write_b64 v48, v[26:27] offset:240
	s_waitcnt lgkmcnt(0)
	s_barrier
	buffer_gl0_inv
	s_clause 0x5
	global_load_dwordx4 v[19:22], v49, s[12:13] offset:480
	global_load_dwordx4 v[23:26], v49, s[12:13] offset:496
	;; [unrolled: 1-line block ×6, first 2 shown]
	ds_read2_b64 v[50:53], v14 offset1:245
	ds_read2_b64 v[54:57], v4 offset0:10 offset1:255
	ds_read_b64 v[62:63], v14 offset:11760
	ds_read2_b64 v[58:61], v8 offset0:4 offset1:249
	s_waitcnt vmcnt(0) lgkmcnt(0)
	s_barrier
	buffer_gl0_inv
	v_mul_f64 v[64:65], v[52:53], v[21:22]
	v_mul_f64 v[21:22], v[2:3], v[21:22]
	v_mul_f64 v[66:67], v[54:55], v[25:26]
	v_mul_f64 v[25:26], v[9:10], v[25:26]
	v_mul_f64 v[68:69], v[62:63], v[29:30]
	v_mul_f64 v[70:71], v[60:61], v[33:34]
	v_mul_f64 v[72:73], v[56:57], v[37:38]
	v_mul_f64 v[37:38], v[11:12], v[37:38]
	v_mul_f64 v[29:30], v[5:6], v[29:30]
	v_fma_f64 v[2:3], v[2:3], v[19:20], v[64:65]
	v_fma_f64 v[19:20], v[52:53], v[19:20], -v[21:22]
	v_mul_f64 v[21:22], v[17:18], v[33:34]
	v_fma_f64 v[9:10], v[9:10], v[23:24], v[66:67]
	v_fma_f64 v[23:24], v[54:55], v[23:24], -v[25:26]
	v_mul_f64 v[25:26], v[58:59], v[48:49]
	v_mul_f64 v[33:34], v[15:16], v[48:49]
	v_fma_f64 v[5:6], v[5:6], v[27:28], v[68:69]
	v_fma_f64 v[17:18], v[17:18], v[31:32], v[70:71]
	;; [unrolled: 1-line block ×3, first 2 shown]
	v_fma_f64 v[27:28], v[62:63], v[27:28], -v[29:30]
	v_fma_f64 v[29:30], v[56:57], v[35:36], -v[37:38]
	;; [unrolled: 1-line block ×3, first 2 shown]
	v_fma_f64 v[15:16], v[15:16], v[46:47], v[25:26]
	v_fma_f64 v[25:26], v[58:59], v[46:47], -v[33:34]
	v_add_f64 v[31:32], v[2:3], v[5:6]
	v_add_f64 v[33:34], v[9:10], v[17:18]
	v_add_f64 v[9:10], v[9:10], -v[17:18]
	v_add_f64 v[35:36], v[19:20], v[27:28]
	v_add_f64 v[19:20], v[19:20], -v[27:28]
	v_add_f64 v[2:3], v[2:3], -v[5:6]
	v_add_f64 v[37:38], v[23:24], v[21:22]
	v_add_f64 v[21:22], v[23:24], -v[21:22]
	v_add_f64 v[23:24], v[11:12], v[15:16]
	;; [unrolled: 2-line block ×3, first 2 shown]
	v_add_f64 v[27:28], v[33:34], v[31:32]
	v_add_f64 v[11:12], v[15:16], -v[11:12]
	v_add_f64 v[56:57], v[9:10], -v[2:3]
	v_add_f64 v[5:6], v[37:38], v[35:36]
	v_add_f64 v[29:30], v[21:22], -v[19:20]
	v_add_f64 v[15:16], v[31:32], -v[23:24]
	;; [unrolled: 1-line block ×4, first 2 shown]
	v_add_f64 v[27:28], v[23:24], v[27:28]
	v_add_f64 v[23:24], v[23:24], -v[33:34]
	v_add_f64 v[52:53], v[25:26], -v[37:38]
	v_add_f64 v[21:22], v[46:47], v[21:22]
	v_add_f64 v[54:55], v[11:12], -v[9:10]
	v_add_f64 v[46:47], v[19:20], -v[46:47]
	;; [unrolled: 1-line block ×4, first 2 shown]
	v_add_f64 v[9:10], v[11:12], v[9:10]
	v_add_f64 v[11:12], v[2:3], -v[11:12]
	v_add_f64 v[5:6], v[25:26], v[5:6]
	v_mul_f64 v[25:26], v[29:30], s[0:1]
	v_mul_f64 v[15:16], v[15:16], s[14:15]
	;; [unrolled: 1-line block ×4, first 2 shown]
	v_add_f64 v[0:1], v[0:1], v[27:28]
	v_mul_f64 v[33:34], v[23:24], s[6:7]
	v_mul_f64 v[48:49], v[52:53], s[6:7]
	v_add_f64 v[19:20], v[21:22], v[19:20]
	v_mul_f64 v[21:22], v[54:55], s[20:21]
	v_mul_f64 v[54:55], v[56:57], s[0:1]
	v_add_f64 v[2:3], v[9:10], v[2:3]
	v_add_f64 v[50:51], v[50:51], v[5:6]
	v_fma_f64 v[25:26], v[46:47], s[18:19], -v[25:26]
	v_fma_f64 v[23:24], v[23:24], s[6:7], v[15:16]
	v_fma_f64 v[58:59], v[46:47], s[24:25], v[17:18]
	v_fma_f64 v[17:18], v[29:30], s[0:1], -v[17:18]
	v_fma_f64 v[27:28], v[27:28], s[16:17], v[0:1]
	v_fma_f64 v[15:16], v[31:32], s[8:9], -v[15:16]
	v_fma_f64 v[29:30], v[31:32], s[4:5], -v[33:34]
	v_fma_f64 v[9:10], v[52:53], s[6:7], v[37:38]
	v_fma_f64 v[31:32], v[35:36], s[4:5], -v[48:49]
	;; [unrolled: 3-line block ×3, first 2 shown]
	v_fma_f64 v[11:12], v[11:12], s[18:19], -v[54:55]
	v_fma_f64 v[5:6], v[5:6], s[16:17], v[50:51]
	v_fma_f64 v[37:38], v[19:20], s[22:23], v[58:59]
	;; [unrolled: 1-line block ×3, first 2 shown]
	v_add_f64 v[23:24], v[23:24], v[27:28]
	v_fma_f64 v[19:20], v[19:20], s[22:23], v[25:26]
	v_add_f64 v[15:16], v[15:16], v[27:28]
	v_add_f64 v[25:26], v[29:30], v[27:28]
	v_fma_f64 v[27:28], v[2:3], s[22:23], v[35:36]
	v_fma_f64 v[21:22], v[2:3], s[22:23], v[21:22]
	;; [unrolled: 1-line block ×3, first 2 shown]
	v_mov_b32_e32 v35, 0x7a8
	v_mul_u32_u24_sdwa v7, v7, v35 dst_sel:DWORD dst_unused:UNUSED_PAD src0_sel:WORD_0 src1_sel:DWORD
	v_add_f64 v[9:10], v[9:10], v[5:6]
	v_add_f64 v[11:12], v[33:34], v[5:6]
	;; [unrolled: 1-line block ×3, first 2 shown]
	v_add3_u32 v39, 0, v7, v13
	v_add_f64 v[29:30], v[37:38], v[23:24]
	v_add_f64 v[31:32], v[19:20], v[15:16]
	v_add_f64 v[33:34], v[25:26], -v[17:18]
	v_add_f64 v[17:18], v[17:18], v[25:26]
	v_add_f64 v[15:16], v[15:16], -v[19:20]
	v_add_f64 v[19:20], v[23:24], -v[37:38]
	ds_write2_b64 v39, v[0:1], v[29:30] offset1:35
	ds_write2_b64 v39, v[31:32], v[33:34] offset0:70 offset1:105
	ds_write2_b64 v39, v[17:18], v[15:16] offset0:140 offset1:175
	ds_write_b64 v39, v[19:20] offset:1680
	v_add_f64 v[23:24], v[9:10], -v[27:28]
	v_add_f64 v[25:26], v[11:12], -v[2:3]
	v_add_f64 v[35:36], v[21:22], v[5:6]
	v_add_f64 v[21:22], v[5:6], -v[21:22]
	v_add_f64 v[37:38], v[2:3], v[11:12]
	v_add_f64 v[27:28], v[27:28], v[9:10]
	s_waitcnt lgkmcnt(0)
	s_barrier
	buffer_gl0_inv
	ds_read2_b64 v[0:3], v14 offset1:245
	ds_read2_b64 v[4:7], v4 offset0:10 offset1:255
	ds_read2_b64 v[8:11], v8 offset0:4 offset1:249
	ds_read_b64 v[12:13], v14 offset:11760
	s_waitcnt lgkmcnt(0)
	s_barrier
	buffer_gl0_inv
	ds_write2_b64 v39, v[50:51], v[23:24] offset1:35
	ds_write2_b64 v39, v[25:26], v[35:36] offset0:70 offset1:105
	ds_write2_b64 v39, v[21:22], v[37:38] offset0:140 offset1:175
	ds_write_b64 v39, v[27:28] offset:1680
	s_waitcnt lgkmcnt(0)
	s_barrier
	buffer_gl0_inv
	s_and_saveexec_b32 s26, vcc_lo
	s_cbranch_execz .LBB0_21
; %bb.20:
	v_mul_u32_u24_e32 v15, 6, v45
	v_add_nc_u32_e32 v39, 0x1e80, v14
	v_add_nc_u32_e32 v53, 0xf00, v14
	v_lshlrev_b32_e32 v15, 4, v15
	v_add_co_u32 v15, s12, s12, v15
	v_add_co_ci_u32_e64 v16, null, s13, 0, s12
	v_add_co_u32 v35, vcc_lo, 0xf00, v15
	v_add_co_ci_u32_e32 v36, vcc_lo, 0, v16, vcc_lo
	v_add_co_u32 v23, vcc_lo, 0x800, v15
	v_add_co_ci_u32_e32 v24, vcc_lo, 0, v16, vcc_lo
	;; [unrolled: 2-line block ×3, first 2 shown]
	s_clause 0x5
	global_load_dwordx4 v[15:18], v[35:36], off offset:16
	global_load_dwordx4 v[19:22], v[23:24], off offset:1856
	;; [unrolled: 1-line block ×6, first 2 shown]
	ds_read2_b64 v[45:48], v14 offset1:245
	ds_read_b64 v[57:58], v14 offset:11760
	ds_read2_b64 v[49:52], v39 offset0:4 offset1:249
	ds_read2_b64 v[53:56], v53 offset0:10 offset1:255
	v_mul_lo_u32 v39, s3, v42
	s_waitcnt vmcnt(5)
	v_mul_f64 v[59:60], v[4:5], v[15:16]
	s_waitcnt vmcnt(4)
	v_mul_f64 v[61:62], v[10:11], v[19:20]
	v_mul_f64 v[4:5], v[4:5], v[17:18]
	v_mul_f64 v[10:11], v[10:11], v[21:22]
	s_waitcnt vmcnt(3)
	v_mul_f64 v[63:64], v[2:3], v[25:26]
	s_waitcnt vmcnt(2)
	v_mul_f64 v[65:66], v[12:13], v[29:30]
	v_mul_f64 v[2:3], v[2:3], v[23:24]
	v_mul_f64 v[12:13], v[12:13], v[27:28]
	;; [unrolled: 6-line block ×3, first 2 shown]
	s_waitcnt lgkmcnt(0)
	v_fma_f64 v[17:18], v[53:54], v[17:18], v[59:60]
	v_fma_f64 v[21:22], v[51:52], v[21:22], v[61:62]
	v_fma_f64 v[4:5], v[53:54], v[15:16], -v[4:5]
	v_fma_f64 v[10:11], v[51:52], v[19:20], -v[10:11]
	;; [unrolled: 1-line block ×4, first 2 shown]
	v_fma_f64 v[2:3], v[47:48], v[25:26], v[2:3]
	v_fma_f64 v[12:13], v[57:58], v[29:30], v[12:13]
	v_fma_f64 v[23:24], v[49:50], v[33:34], v[67:68]
	v_fma_f64 v[25:26], v[55:56], v[37:38], v[69:70]
	v_fma_f64 v[6:7], v[55:56], v[35:36], -v[6:7]
	v_fma_f64 v[8:9], v[49:50], v[31:32], -v[8:9]
	v_mul_lo_u32 v57, s2, v43
	v_mad_u64_u32 v[42:43], null, s2, v42, 0
	v_add3_u32 v43, v43, v57, v39
	v_add_f64 v[31:32], v[17:18], v[21:22]
	v_add_f64 v[16:17], v[17:18], -v[21:22]
	v_add_f64 v[27:28], v[4:5], v[10:11]
	v_add_f64 v[4:5], v[4:5], -v[10:11]
	v_add_f64 v[29:30], v[14:15], v[19:20]
	v_add_f64 v[33:34], v[2:3], v[12:13]
	v_add_f64 v[35:36], v[23:24], -v[25:26]
	v_add_f64 v[23:24], v[23:24], v[25:26]
	v_add_f64 v[21:22], v[8:9], v[6:7]
	v_add_f64 v[6:7], v[8:9], -v[6:7]
	v_add_f64 v[8:9], v[2:3], -v[12:13]
	;; [unrolled: 1-line block ×3, first 2 shown]
	v_add_f64 v[2:3], v[27:28], v[29:30]
	v_add_f64 v[10:11], v[31:32], v[33:34]
	v_add_f64 v[14:15], v[35:36], -v[16:17]
	v_add_f64 v[25:26], v[33:34], -v[23:24]
	;; [unrolled: 1-line block ×6, first 2 shown]
	v_add_f64 v[16:17], v[35:36], v[16:17]
	v_add_f64 v[35:36], v[8:9], -v[35:36]
	v_add_f64 v[4:5], v[6:7], v[4:5]
	v_add_f64 v[6:7], v[12:13], -v[6:7]
	;; [unrolled: 2-line block ×4, first 2 shown]
	v_mul_f64 v[14:15], v[14:15], s[20:21]
	v_mul_f64 v[24:25], v[25:26], s[14:15]
	;; [unrolled: 1-line block ×5, first 2 shown]
	v_add_f64 v[26:27], v[27:28], -v[29:30]
	v_mul_f64 v[55:56], v[51:52], s[0:1]
	v_add_f64 v[30:31], v[31:32], -v[33:34]
	v_add_f64 v[8:9], v[16:17], v[8:9]
	v_add_f64 v[4:5], v[4:5], v[12:13]
	v_add_f64 v[2:3], v[45:46], v[49:50]
	v_mul_f64 v[28:29], v[20:21], s[6:7]
	v_add_f64 v[0:1], v[0:1], v[10:11]
	v_mul_f64 v[32:33], v[22:23], s[6:7]
	v_fma_f64 v[12:13], v[35:36], s[24:25], v[14:15]
	v_fma_f64 v[14:15], v[47:48], s[0:1], -v[14:15]
	v_fma_f64 v[16:17], v[20:21], s[6:7], v[18:19]
	v_fma_f64 v[20:21], v[22:23], s[6:7], v[24:25]
	;; [unrolled: 1-line block ×3, first 2 shown]
	v_fma_f64 v[34:35], v[35:36], s[18:19], -v[53:54]
	v_fma_f64 v[18:19], v[26:27], s[8:9], -v[18:19]
	;; [unrolled: 1-line block ×5, first 2 shown]
	v_mov_b32_e32 v45, 0
	v_lshlrev_b64 v[38:39], 4, v[44:45]
	v_fma_f64 v[46:47], v[49:50], s[16:17], v[2:3]
	v_fma_f64 v[26:27], v[26:27], s[4:5], -v[28:29]
	v_fma_f64 v[10:11], v[10:11], s[16:17], v[0:1]
	v_fma_f64 v[30:31], v[30:31], s[4:5], -v[32:33]
	v_lshlrev_b64 v[28:29], 4, v[42:43]
	v_lshlrev_b64 v[32:33], 4, v[40:41]
	v_fma_f64 v[12:13], v[8:9], s[22:23], v[12:13]
	v_add_co_u32 v40, vcc_lo, s10, v28
	v_add_co_ci_u32_e32 v41, vcc_lo, s11, v29, vcc_lo
	v_fma_f64 v[28:29], v[4:5], s[22:23], v[22:23]
	v_fma_f64 v[22:23], v[8:9], s[22:23], v[34:35]
	;; [unrolled: 1-line block ×3, first 2 shown]
	v_add_co_u32 v14, vcc_lo, v40, v32
	v_add_co_ci_u32_e32 v15, vcc_lo, v41, v33, vcc_lo
	v_fma_f64 v[32:33], v[4:5], s[22:23], v[6:7]
	v_add_f64 v[16:17], v[16:17], v[46:47]
	v_add_f64 v[34:35], v[18:19], v[46:47]
	;; [unrolled: 1-line block ×5, first 2 shown]
	v_fma_f64 v[36:37], v[4:5], s[22:23], v[36:37]
	v_add_f64 v[30:31], v[30:31], v[10:11]
	v_add_co_u32 v38, vcc_lo, v14, v38
	v_add_co_ci_u32_e32 v39, vcc_lo, v15, v39, vcc_lo
	v_add_co_u32 v42, vcc_lo, 0x800, v38
	v_add_co_ci_u32_e32 v43, vcc_lo, 0, v39, vcc_lo
	v_add_co_u32 v44, vcc_lo, 0x1800, v38
	v_add_co_ci_u32_e32 v45, vcc_lo, 0, v39, vcc_lo
	v_add_f64 v[26:27], v[16:17], -v[12:13]
	v_add_f64 v[10:11], v[22:23], v[34:35]
	v_add_f64 v[24:25], v[28:29], v[20:21]
	v_add_f64 v[4:5], v[20:21], -v[28:29]
	v_add_f64 v[22:23], v[34:35], -v[22:23]
	v_add_f64 v[20:21], v[32:33], v[40:41]
	v_add_f64 v[6:7], v[12:13], v[16:17]
	v_add_f64 v[14:15], v[18:19], -v[8:9]
	v_add_f64 v[18:19], v[8:9], v[18:19]
	v_add_f64 v[16:17], v[30:31], -v[36:37]
	;; [unrolled: 2-line block ×3, first 2 shown]
	v_add_co_u32 v28, vcc_lo, 0x2800, v38
	v_add_co_ci_u32_e32 v29, vcc_lo, 0, v39, vcc_lo
	v_add_co_u32 v30, vcc_lo, 0x3800, v38
	v_add_co_ci_u32_e32 v31, vcc_lo, 0, v39, vcc_lo
	;; [unrolled: 2-line block ×4, first 2 shown]
	global_store_dwordx4 v[38:39], v[0:3], off
	global_store_dwordx4 v[42:43], v[24:27], off offset:1872
	global_store_dwordx4 v[44:45], v[20:23], off offset:1696
	;; [unrolled: 1-line block ×6, first 2 shown]
.LBB0_21:
	s_endpgm
	.section	.rodata,"a",@progbits
	.p2align	6, 0x0
	.amdhsa_kernel fft_rtc_back_len1715_factors_5_7_7_7_wgs_245_tpt_245_halfLds_dp_op_CI_CI_unitstride_sbrr_dirReg
		.amdhsa_group_segment_fixed_size 0
		.amdhsa_private_segment_fixed_size 0
		.amdhsa_kernarg_size 104
		.amdhsa_user_sgpr_count 6
		.amdhsa_user_sgpr_private_segment_buffer 1
		.amdhsa_user_sgpr_dispatch_ptr 0
		.amdhsa_user_sgpr_queue_ptr 0
		.amdhsa_user_sgpr_kernarg_segment_ptr 1
		.amdhsa_user_sgpr_dispatch_id 0
		.amdhsa_user_sgpr_flat_scratch_init 0
		.amdhsa_user_sgpr_private_segment_size 0
		.amdhsa_wavefront_size32 1
		.amdhsa_uses_dynamic_stack 0
		.amdhsa_system_sgpr_private_segment_wavefront_offset 0
		.amdhsa_system_sgpr_workgroup_id_x 1
		.amdhsa_system_sgpr_workgroup_id_y 0
		.amdhsa_system_sgpr_workgroup_id_z 0
		.amdhsa_system_sgpr_workgroup_info 0
		.amdhsa_system_vgpr_workitem_id 0
		.amdhsa_next_free_vgpr 77
		.amdhsa_next_free_sgpr 27
		.amdhsa_reserve_vcc 1
		.amdhsa_reserve_flat_scratch 0
		.amdhsa_float_round_mode_32 0
		.amdhsa_float_round_mode_16_64 0
		.amdhsa_float_denorm_mode_32 3
		.amdhsa_float_denorm_mode_16_64 3
		.amdhsa_dx10_clamp 1
		.amdhsa_ieee_mode 1
		.amdhsa_fp16_overflow 0
		.amdhsa_workgroup_processor_mode 1
		.amdhsa_memory_ordered 1
		.amdhsa_forward_progress 0
		.amdhsa_shared_vgpr_count 0
		.amdhsa_exception_fp_ieee_invalid_op 0
		.amdhsa_exception_fp_denorm_src 0
		.amdhsa_exception_fp_ieee_div_zero 0
		.amdhsa_exception_fp_ieee_overflow 0
		.amdhsa_exception_fp_ieee_underflow 0
		.amdhsa_exception_fp_ieee_inexact 0
		.amdhsa_exception_int_div_zero 0
	.end_amdhsa_kernel
	.text
.Lfunc_end0:
	.size	fft_rtc_back_len1715_factors_5_7_7_7_wgs_245_tpt_245_halfLds_dp_op_CI_CI_unitstride_sbrr_dirReg, .Lfunc_end0-fft_rtc_back_len1715_factors_5_7_7_7_wgs_245_tpt_245_halfLds_dp_op_CI_CI_unitstride_sbrr_dirReg
                                        ; -- End function
	.section	.AMDGPU.csdata,"",@progbits
; Kernel info:
; codeLenInByte = 6736
; NumSgprs: 29
; NumVgprs: 77
; ScratchSize: 0
; MemoryBound: 1
; FloatMode: 240
; IeeeMode: 1
; LDSByteSize: 0 bytes/workgroup (compile time only)
; SGPRBlocks: 3
; VGPRBlocks: 9
; NumSGPRsForWavesPerEU: 29
; NumVGPRsForWavesPerEU: 77
; Occupancy: 12
; WaveLimiterHint : 1
; COMPUTE_PGM_RSRC2:SCRATCH_EN: 0
; COMPUTE_PGM_RSRC2:USER_SGPR: 6
; COMPUTE_PGM_RSRC2:TRAP_HANDLER: 0
; COMPUTE_PGM_RSRC2:TGID_X_EN: 1
; COMPUTE_PGM_RSRC2:TGID_Y_EN: 0
; COMPUTE_PGM_RSRC2:TGID_Z_EN: 0
; COMPUTE_PGM_RSRC2:TIDIG_COMP_CNT: 0
	.text
	.p2alignl 6, 3214868480
	.fill 48, 4, 3214868480
	.type	__hip_cuid_f64d1320c577f42d,@object ; @__hip_cuid_f64d1320c577f42d
	.section	.bss,"aw",@nobits
	.globl	__hip_cuid_f64d1320c577f42d
__hip_cuid_f64d1320c577f42d:
	.byte	0                               ; 0x0
	.size	__hip_cuid_f64d1320c577f42d, 1

	.ident	"AMD clang version 19.0.0git (https://github.com/RadeonOpenCompute/llvm-project roc-6.4.0 25133 c7fe45cf4b819c5991fe208aaa96edf142730f1d)"
	.section	".note.GNU-stack","",@progbits
	.addrsig
	.addrsig_sym __hip_cuid_f64d1320c577f42d
	.amdgpu_metadata
---
amdhsa.kernels:
  - .args:
      - .actual_access:  read_only
        .address_space:  global
        .offset:         0
        .size:           8
        .value_kind:     global_buffer
      - .offset:         8
        .size:           8
        .value_kind:     by_value
      - .actual_access:  read_only
        .address_space:  global
        .offset:         16
        .size:           8
        .value_kind:     global_buffer
      - .actual_access:  read_only
        .address_space:  global
        .offset:         24
        .size:           8
        .value_kind:     global_buffer
      - .actual_access:  read_only
        .address_space:  global
        .offset:         32
        .size:           8
        .value_kind:     global_buffer
      - .offset:         40
        .size:           8
        .value_kind:     by_value
      - .actual_access:  read_only
        .address_space:  global
        .offset:         48
        .size:           8
        .value_kind:     global_buffer
      - .actual_access:  read_only
        .address_space:  global
        .offset:         56
        .size:           8
        .value_kind:     global_buffer
      - .offset:         64
        .size:           4
        .value_kind:     by_value
      - .actual_access:  read_only
        .address_space:  global
        .offset:         72
        .size:           8
        .value_kind:     global_buffer
      - .actual_access:  read_only
        .address_space:  global
        .offset:         80
        .size:           8
        .value_kind:     global_buffer
      - .actual_access:  read_only
        .address_space:  global
        .offset:         88
        .size:           8
        .value_kind:     global_buffer
      - .actual_access:  write_only
        .address_space:  global
        .offset:         96
        .size:           8
        .value_kind:     global_buffer
    .group_segment_fixed_size: 0
    .kernarg_segment_align: 8
    .kernarg_segment_size: 104
    .language:       OpenCL C
    .language_version:
      - 2
      - 0
    .max_flat_workgroup_size: 245
    .name:           fft_rtc_back_len1715_factors_5_7_7_7_wgs_245_tpt_245_halfLds_dp_op_CI_CI_unitstride_sbrr_dirReg
    .private_segment_fixed_size: 0
    .sgpr_count:     29
    .sgpr_spill_count: 0
    .symbol:         fft_rtc_back_len1715_factors_5_7_7_7_wgs_245_tpt_245_halfLds_dp_op_CI_CI_unitstride_sbrr_dirReg.kd
    .uniform_work_group_size: 1
    .uses_dynamic_stack: false
    .vgpr_count:     77
    .vgpr_spill_count: 0
    .wavefront_size: 32
    .workgroup_processor_mode: 1
amdhsa.target:   amdgcn-amd-amdhsa--gfx1030
amdhsa.version:
  - 1
  - 2
...

	.end_amdgpu_metadata
